;; amdgpu-corpus repo=ROCm/rocFFT kind=compiled arch=gfx1030 opt=O3
	.text
	.amdgcn_target "amdgcn-amd-amdhsa--gfx1030"
	.amdhsa_code_object_version 6
	.protected	fft_rtc_back_len1750_factors_2_5_5_7_5_wgs_175_tpt_175_halfLds_sp_op_CI_CI_unitstride_sbrr_dirReg ; -- Begin function fft_rtc_back_len1750_factors_2_5_5_7_5_wgs_175_tpt_175_halfLds_sp_op_CI_CI_unitstride_sbrr_dirReg
	.globl	fft_rtc_back_len1750_factors_2_5_5_7_5_wgs_175_tpt_175_halfLds_sp_op_CI_CI_unitstride_sbrr_dirReg
	.p2align	8
	.type	fft_rtc_back_len1750_factors_2_5_5_7_5_wgs_175_tpt_175_halfLds_sp_op_CI_CI_unitstride_sbrr_dirReg,@function
fft_rtc_back_len1750_factors_2_5_5_7_5_wgs_175_tpt_175_halfLds_sp_op_CI_CI_unitstride_sbrr_dirReg: ; @fft_rtc_back_len1750_factors_2_5_5_7_5_wgs_175_tpt_175_halfLds_sp_op_CI_CI_unitstride_sbrr_dirReg
; %bb.0:
	s_clause 0x2
	s_load_dwordx4 s[12:15], s[4:5], 0x0
	s_load_dwordx4 s[8:11], s[4:5], 0x58
	;; [unrolled: 1-line block ×3, first 2 shown]
	v_mul_u32_u24_e32 v1, 0x177, v0
	v_mov_b32_e32 v7, 0
	v_mov_b32_e32 v5, 0
	;; [unrolled: 1-line block ×3, first 2 shown]
	v_add_nc_u32_sdwa v9, s6, v1 dst_sel:DWORD dst_unused:UNUSED_PAD src0_sel:DWORD src1_sel:WORD_1
	v_mov_b32_e32 v10, v7
	s_waitcnt lgkmcnt(0)
	v_cmp_lt_u64_e64 s0, s[14:15], 2
	s_and_b32 vcc_lo, exec_lo, s0
	s_cbranch_vccnz .LBB0_8
; %bb.1:
	s_load_dwordx2 s[0:1], s[4:5], 0x10
	v_mov_b32_e32 v5, 0
	v_mov_b32_e32 v6, 0
	s_add_u32 s2, s18, 8
	s_addc_u32 s3, s19, 0
	v_mov_b32_e32 v1, v5
	s_add_u32 s6, s16, 8
	v_mov_b32_e32 v2, v6
	s_addc_u32 s7, s17, 0
	s_mov_b64 s[22:23], 1
	s_waitcnt lgkmcnt(0)
	s_add_u32 s20, s0, 8
	s_addc_u32 s21, s1, 0
.LBB0_2:                                ; =>This Inner Loop Header: Depth=1
	s_load_dwordx2 s[24:25], s[20:21], 0x0
                                        ; implicit-def: $vgpr3_vgpr4
	s_mov_b32 s0, exec_lo
	s_waitcnt lgkmcnt(0)
	v_or_b32_e32 v8, s25, v10
	v_cmpx_ne_u64_e32 0, v[7:8]
	s_xor_b32 s1, exec_lo, s0
	s_cbranch_execz .LBB0_4
; %bb.3:                                ;   in Loop: Header=BB0_2 Depth=1
	v_cvt_f32_u32_e32 v3, s24
	v_cvt_f32_u32_e32 v4, s25
	s_sub_u32 s0, 0, s24
	s_subb_u32 s26, 0, s25
	v_fmac_f32_e32 v3, 0x4f800000, v4
	v_rcp_f32_e32 v3, v3
	v_mul_f32_e32 v3, 0x5f7ffffc, v3
	v_mul_f32_e32 v4, 0x2f800000, v3
	v_trunc_f32_e32 v4, v4
	v_fmac_f32_e32 v3, 0xcf800000, v4
	v_cvt_u32_f32_e32 v4, v4
	v_cvt_u32_f32_e32 v3, v3
	v_mul_lo_u32 v8, s0, v4
	v_mul_hi_u32 v11, s0, v3
	v_mul_lo_u32 v12, s26, v3
	v_add_nc_u32_e32 v8, v11, v8
	v_mul_lo_u32 v11, s0, v3
	v_add_nc_u32_e32 v8, v8, v12
	v_mul_hi_u32 v12, v3, v11
	v_mul_lo_u32 v13, v3, v8
	v_mul_hi_u32 v14, v3, v8
	v_mul_hi_u32 v15, v4, v11
	v_mul_lo_u32 v11, v4, v11
	v_mul_hi_u32 v16, v4, v8
	v_mul_lo_u32 v8, v4, v8
	v_add_co_u32 v12, vcc_lo, v12, v13
	v_add_co_ci_u32_e32 v13, vcc_lo, 0, v14, vcc_lo
	v_add_co_u32 v11, vcc_lo, v12, v11
	v_add_co_ci_u32_e32 v11, vcc_lo, v13, v15, vcc_lo
	v_add_co_ci_u32_e32 v12, vcc_lo, 0, v16, vcc_lo
	v_add_co_u32 v8, vcc_lo, v11, v8
	v_add_co_ci_u32_e32 v11, vcc_lo, 0, v12, vcc_lo
	v_add_co_u32 v3, vcc_lo, v3, v8
	v_add_co_ci_u32_e32 v4, vcc_lo, v4, v11, vcc_lo
	v_mul_hi_u32 v8, s0, v3
	v_mul_lo_u32 v12, s26, v3
	v_mul_lo_u32 v11, s0, v4
	v_add_nc_u32_e32 v8, v8, v11
	v_mul_lo_u32 v11, s0, v3
	v_add_nc_u32_e32 v8, v8, v12
	v_mul_hi_u32 v12, v3, v11
	v_mul_lo_u32 v13, v3, v8
	v_mul_hi_u32 v14, v3, v8
	v_mul_hi_u32 v15, v4, v11
	v_mul_lo_u32 v11, v4, v11
	v_mul_hi_u32 v16, v4, v8
	v_mul_lo_u32 v8, v4, v8
	v_add_co_u32 v12, vcc_lo, v12, v13
	v_add_co_ci_u32_e32 v13, vcc_lo, 0, v14, vcc_lo
	v_add_co_u32 v11, vcc_lo, v12, v11
	v_add_co_ci_u32_e32 v11, vcc_lo, v13, v15, vcc_lo
	v_add_co_ci_u32_e32 v12, vcc_lo, 0, v16, vcc_lo
	v_add_co_u32 v8, vcc_lo, v11, v8
	v_add_co_ci_u32_e32 v11, vcc_lo, 0, v12, vcc_lo
	v_add_co_u32 v8, vcc_lo, v3, v8
	v_add_co_ci_u32_e32 v13, vcc_lo, v4, v11, vcc_lo
	v_mul_hi_u32 v15, v9, v8
	v_mad_u64_u32 v[11:12], null, v10, v8, 0
	v_mad_u64_u32 v[3:4], null, v9, v13, 0
	;; [unrolled: 1-line block ×3, first 2 shown]
	v_add_co_u32 v3, vcc_lo, v15, v3
	v_add_co_ci_u32_e32 v4, vcc_lo, 0, v4, vcc_lo
	v_add_co_u32 v3, vcc_lo, v3, v11
	v_add_co_ci_u32_e32 v3, vcc_lo, v4, v12, vcc_lo
	v_add_co_ci_u32_e32 v4, vcc_lo, 0, v14, vcc_lo
	v_add_co_u32 v8, vcc_lo, v3, v13
	v_add_co_ci_u32_e32 v11, vcc_lo, 0, v4, vcc_lo
	v_mul_lo_u32 v12, s25, v8
	v_mad_u64_u32 v[3:4], null, s24, v8, 0
	v_mul_lo_u32 v13, s24, v11
	v_sub_co_u32 v3, vcc_lo, v9, v3
	v_add3_u32 v4, v4, v13, v12
	v_sub_nc_u32_e32 v12, v10, v4
	v_subrev_co_ci_u32_e64 v12, s0, s25, v12, vcc_lo
	v_add_co_u32 v13, s0, v8, 2
	v_add_co_ci_u32_e64 v14, s0, 0, v11, s0
	v_sub_co_u32 v15, s0, v3, s24
	v_sub_co_ci_u32_e32 v4, vcc_lo, v10, v4, vcc_lo
	v_subrev_co_ci_u32_e64 v12, s0, 0, v12, s0
	v_cmp_le_u32_e32 vcc_lo, s24, v15
	v_cmp_eq_u32_e64 s0, s25, v4
	v_cndmask_b32_e64 v15, 0, -1, vcc_lo
	v_cmp_le_u32_e32 vcc_lo, s25, v12
	v_cndmask_b32_e64 v16, 0, -1, vcc_lo
	v_cmp_le_u32_e32 vcc_lo, s24, v3
	;; [unrolled: 2-line block ×3, first 2 shown]
	v_cndmask_b32_e64 v17, 0, -1, vcc_lo
	v_cmp_eq_u32_e32 vcc_lo, s25, v12
	v_cndmask_b32_e64 v3, v17, v3, s0
	v_cndmask_b32_e32 v12, v16, v15, vcc_lo
	v_add_co_u32 v15, vcc_lo, v8, 1
	v_add_co_ci_u32_e32 v16, vcc_lo, 0, v11, vcc_lo
	v_cmp_ne_u32_e32 vcc_lo, 0, v12
	v_cndmask_b32_e32 v4, v16, v14, vcc_lo
	v_cndmask_b32_e32 v12, v15, v13, vcc_lo
	v_cmp_ne_u32_e32 vcc_lo, 0, v3
	v_cndmask_b32_e32 v4, v11, v4, vcc_lo
	v_cndmask_b32_e32 v3, v8, v12, vcc_lo
.LBB0_4:                                ;   in Loop: Header=BB0_2 Depth=1
	s_andn2_saveexec_b32 s0, s1
	s_cbranch_execz .LBB0_6
; %bb.5:                                ;   in Loop: Header=BB0_2 Depth=1
	v_cvt_f32_u32_e32 v3, s24
	s_sub_i32 s1, 0, s24
	v_rcp_iflag_f32_e32 v3, v3
	v_mul_f32_e32 v3, 0x4f7ffffe, v3
	v_cvt_u32_f32_e32 v3, v3
	v_mul_lo_u32 v4, s1, v3
	v_mul_hi_u32 v4, v3, v4
	v_add_nc_u32_e32 v3, v3, v4
	v_mul_hi_u32 v3, v9, v3
	v_mul_lo_u32 v4, v3, s24
	v_add_nc_u32_e32 v8, 1, v3
	v_sub_nc_u32_e32 v4, v9, v4
	v_subrev_nc_u32_e32 v11, s24, v4
	v_cmp_le_u32_e32 vcc_lo, s24, v4
	v_cndmask_b32_e32 v4, v4, v11, vcc_lo
	v_cndmask_b32_e32 v3, v3, v8, vcc_lo
	v_cmp_le_u32_e32 vcc_lo, s24, v4
	v_add_nc_u32_e32 v8, 1, v3
	v_mov_b32_e32 v4, v7
	v_cndmask_b32_e32 v3, v3, v8, vcc_lo
.LBB0_6:                                ;   in Loop: Header=BB0_2 Depth=1
	s_or_b32 exec_lo, exec_lo, s0
	v_mul_lo_u32 v8, v4, s24
	v_mul_lo_u32 v13, v3, s25
	s_load_dwordx2 s[0:1], s[6:7], 0x0
	v_mad_u64_u32 v[11:12], null, v3, s24, 0
	s_load_dwordx2 s[24:25], s[2:3], 0x0
	s_add_u32 s22, s22, 1
	s_addc_u32 s23, s23, 0
	s_add_u32 s2, s2, 8
	s_addc_u32 s3, s3, 0
	s_add_u32 s6, s6, 8
	v_add3_u32 v8, v12, v13, v8
	v_sub_co_u32 v9, vcc_lo, v9, v11
	s_addc_u32 s7, s7, 0
	s_add_u32 s20, s20, 8
	v_sub_co_ci_u32_e32 v8, vcc_lo, v10, v8, vcc_lo
	s_addc_u32 s21, s21, 0
	s_waitcnt lgkmcnt(0)
	v_mul_lo_u32 v10, s0, v8
	v_mul_lo_u32 v11, s1, v9
	v_mad_u64_u32 v[5:6], null, s0, v9, v[5:6]
	v_mul_lo_u32 v8, s24, v8
	v_mul_lo_u32 v12, s25, v9
	v_mad_u64_u32 v[1:2], null, s24, v9, v[1:2]
	v_cmp_ge_u64_e64 s0, s[22:23], s[14:15]
	v_add3_u32 v6, v11, v6, v10
	v_add3_u32 v2, v12, v2, v8
	s_and_b32 vcc_lo, exec_lo, s0
	s_cbranch_vccnz .LBB0_9
; %bb.7:                                ;   in Loop: Header=BB0_2 Depth=1
	v_mov_b32_e32 v10, v4
	v_mov_b32_e32 v9, v3
	s_branch .LBB0_2
.LBB0_8:
	v_mov_b32_e32 v1, v5
	v_mov_b32_e32 v3, v9
	;; [unrolled: 1-line block ×4, first 2 shown]
.LBB0_9:
	s_load_dwordx2 s[0:1], s[4:5], 0x28
	v_mul_hi_u32 v13, 0x1767dcf, v0
	s_lshl_b64 s[4:5], s[14:15], 3
                                        ; implicit-def: $sgpr6_sgpr7
                                        ; implicit-def: $vgpr30
	s_add_u32 s2, s18, s4
	s_addc_u32 s3, s19, s5
	s_waitcnt lgkmcnt(0)
	v_cmp_gt_u64_e32 vcc_lo, s[0:1], v[3:4]
	v_cmp_le_u64_e64 s0, s[0:1], v[3:4]
	s_and_saveexec_b32 s1, s0
	s_xor_b32 s0, exec_lo, s1
; %bb.10:
	v_mul_u32_u24_e32 v5, 0xaf, v13
	s_mov_b64 s[6:7], 0
                                        ; implicit-def: $vgpr13
	v_sub_nc_u32_e32 v30, v0, v5
                                        ; implicit-def: $vgpr0
                                        ; implicit-def: $vgpr5_vgpr6
; %bb.11:
	s_or_saveexec_b32 s1, s0
	v_mov_b32_e32 v8, s7
	v_mov_b32_e32 v16, s7
	;; [unrolled: 1-line block ×10, first 2 shown]
                                        ; implicit-def: $vgpr26
                                        ; implicit-def: $vgpr20
                                        ; implicit-def: $vgpr14
                                        ; implicit-def: $vgpr24
                                        ; implicit-def: $vgpr22
	s_xor_b32 exec_lo, exec_lo, s1
	s_cbranch_execz .LBB0_13
; %bb.12:
	s_add_u32 s4, s16, s4
	s_addc_u32 s5, s17, s5
	v_lshlrev_b64 v[5:6], 3, v[5:6]
	s_load_dwordx2 s[4:5], s[4:5], 0x0
	s_waitcnt lgkmcnt(0)
	v_mul_lo_u32 v9, s5, v3
	v_mul_lo_u32 v10, s4, v4
	v_mad_u64_u32 v[7:8], null, s4, v3, 0
	v_add3_u32 v8, v8, v10, v9
	v_mul_u32_u24_e32 v9, 0xaf, v13
	v_lshlrev_b64 v[7:8], 3, v[7:8]
	v_sub_nc_u32_e32 v30, v0, v9
	v_add_co_u32 v0, s0, s8, v7
	v_add_co_ci_u32_e64 v7, s0, s9, v8, s0
	v_lshlrev_b32_e32 v8, 3, v30
	v_add_co_u32 v0, s0, v0, v5
	v_add_co_ci_u32_e64 v6, s0, v7, v6, s0
	v_add_co_u32 v5, s0, v0, v8
	v_add_co_ci_u32_e64 v6, s0, 0, v6, s0
	;; [unrolled: 2-line block ×7, first 2 shown]
	v_add_co_u32 v31, s0, 0x3000, v5
	global_load_dwordx2 v[7:8], v[5:6], off
	v_add_co_ci_u32_e64 v32, s0, 0, v6, s0
	s_clause 0x8
	global_load_dwordx2 v[21:22], v[13:14], off offset:208
	global_load_dwordx2 v[25:26], v[9:10], off offset:856
	;; [unrolled: 1-line block ×9, first 2 shown]
.LBB0_13:
	s_or_b32 exec_lo, exec_lo, s1
	s_waitcnt vmcnt(7)
	v_sub_f32_e32 v27, v7, v25
	v_sub_f32_e32 v29, v8, v26
	s_waitcnt vmcnt(6)
	v_sub_f32_e32 v22, v16, v22
	v_lshlrev_b32_e32 v5, 2, v30
	v_sub_f32_e32 v25, v15, v21
	v_fma_f32 v26, v7, 2.0, -v27
	s_waitcnt vmcnt(2)
	v_sub_f32_e32 v7, v17, v23
	v_add_nc_u32_e32 v31, 0xaf, v30
	v_sub_f32_e32 v33, v18, v24
	s_waitcnt vmcnt(1)
	v_sub_f32_e32 v19, v11, v19
	v_fma_f32 v21, v16, 2.0, -v22
	v_fma_f32 v6, v17, 2.0, -v7
	v_lshl_add_u32 v17, v30, 3, 0
	v_sub_f32_e32 v16, v12, v20
	s_waitcnt vmcnt(0)
	v_sub_f32_e32 v13, v9, v13
	v_fma_f32 v24, v15, 2.0, -v25
	v_sub_f32_e32 v35, v10, v14
	v_sub_nc_u32_e32 v0, v17, v5
	v_lshl_add_u32 v14, v31, 3, 0
	v_fma_f32 v32, v18, 2.0, -v33
	v_fma_f32 v18, v11, 2.0, -v19
	v_add_nc_u32_e32 v20, 0xa00, v17
	v_fma_f32 v28, v8, 2.0, -v29
	v_fma_f32 v15, v12, 2.0, -v16
	;; [unrolled: 1-line block ×3, first 2 shown]
	v_and_b32_e32 v44, 1, v30
	v_add_nc_u32_e32 v11, 0x500, v0
	s_load_dwordx2 s[2:3], s[2:3], 0x0
	ds_write_b64 v17, v[26:27]
	ds_write_b64 v14, v[24:25]
	ds_write2_b64 v20, v[6:7], v[18:19] offset0:30 offset1:205
	v_add_nc_u32_e32 v6, 0xa00, v0
	v_add_nc_u32_e32 v7, 0x1000, v0
	v_fma_f32 v34, v10, 2.0, -v35
	v_add_nc_u32_e32 v10, 0x1500, v0
	ds_write_b64 v17, v[12:13] offset:5600
	s_waitcnt lgkmcnt(0)
	s_barrier
	buffer_gl0_inv
	ds_read2_b32 v[8:9], v0 offset1:175
	ds_read2_b32 v[36:37], v11 offset0:30 offset1:205
	ds_read2_b32 v[38:39], v6 offset0:60 offset1:235
	;; [unrolled: 1-line block ×4, first 2 shown]
	s_waitcnt lgkmcnt(0)
	s_barrier
	buffer_gl0_inv
	ds_write_b64 v17, v[28:29]
	ds_write_b64 v14, v[21:22]
	ds_write2_b64 v20, v[32:33], v[15:16] offset0:30 offset1:205
	v_lshlrev_b32_e32 v16, 5, v44
	ds_write_b64 v17, v[34:35] offset:5600
	s_waitcnt lgkmcnt(0)
	s_barrier
	buffer_gl0_inv
	global_load_dwordx4 v[12:15], v16, s[12:13]
	v_and_b32_e32 v35, 1, v31
	global_load_dwordx4 v[16:19], v16, s[12:13] offset:16
	v_lshrrev_b32_e32 v28, 1, v30
	v_and_b32_e32 v32, 0xff, v30
	v_mov_b32_e32 v29, 0xcccd
	v_lshlrev_b32_e32 v24, 5, v35
	s_clause 0x1
	global_load_dwordx4 v[20:23], v24, s[12:13]
	global_load_dwordx4 v[24:27], v24, s[12:13] offset:16
	v_mul_u32_u24_e32 v33, 10, v28
	v_lshrrev_b32_e32 v46, 1, v31
	v_mul_lo_u16 v45, 0xcd, v32
	v_mul_u32_u24_sdwa v47, v31, v29 dst_sel:DWORD dst_unused:UNUSED_PAD src0_sel:WORD_0 src1_sel:DWORD
	ds_read2_b32 v[28:29], v11 offset0:30 offset1:205
	v_or_b32_e32 v51, v33, v44
	ds_read2_b32 v[33:34], v6 offset0:60 offset1:235
	v_lshrrev_b16 v61, 11, v45
	ds_read2_b32 v[44:45], v7 offset0:26 offset1:201
	v_mul_u32_u24_e32 v52, 10, v46
	v_lshrrev_b32_e32 v62, 19, v47
	ds_read2_b32 v[46:47], v0 offset1:175
	ds_read2_b32 v[48:49], v10 offset0:56 offset1:231
	v_mul_lo_u16 v53, v61, 10
	v_mov_b32_e32 v50, 5
	v_or_b32_e32 v35, v52, v35
	v_mul_lo_u16 v52, v62, 10
	v_lshl_add_u32 v51, v51, 2, 0
	v_sub_nc_u16 v63, v30, v53
	s_waitcnt vmcnt(0) lgkmcnt(0)
	v_lshl_add_u32 v35, v35, 2, 0
	v_sub_nc_u16 v64, v31, v52
	s_barrier
	v_lshlrev_b32_sdwa v52, v50, v63 dst_sel:DWORD dst_unused:UNUSED_PAD src0_sel:DWORD src1_sel:BYTE_0
	buffer_gl0_inv
	v_cmp_gt_u32_e64 s0, 0x4b, v30
	v_mul_f32_e32 v53, v28, v13
	v_mul_f32_e32 v13, v36, v13
	;; [unrolled: 1-line block ×6, first 2 shown]
	v_fmac_f32_e32 v53, v36, v12
	v_fma_f32 v12, v28, v12, -v13
	v_fmac_f32_e32 v54, v38, v14
	v_fma_f32 v13, v33, v14, -v15
	v_mul_f32_e32 v14, v48, v19
	v_mul_f32_e32 v15, v42, v19
	;; [unrolled: 1-line block ×4, first 2 shown]
	v_fmac_f32_e32 v55, v40, v16
	v_fma_f32 v16, v44, v16, -v17
	v_fmac_f32_e32 v14, v42, v18
	v_fma_f32 v15, v48, v18, -v15
	v_mul_f32_e32 v17, v34, v23
	v_mul_f32_e32 v18, v39, v23
	;; [unrolled: 1-line block ×5, first 2 shown]
	v_fmac_f32_e32 v19, v37, v20
	v_mul_f32_e32 v27, v43, v27
	v_fma_f32 v20, v29, v20, -v21
	v_fmac_f32_e32 v17, v39, v22
	v_fmac_f32_e32 v23, v41, v24
	v_fma_f32 v21, v45, v24, -v25
	v_fmac_f32_e32 v28, v43, v26
	v_add_f32_e32 v24, v8, v53
	v_sub_f32_e32 v29, v53, v54
	v_sub_f32_e32 v33, v14, v55
	;; [unrolled: 1-line block ×4, first 2 shown]
	v_fma_f32 v18, v34, v22, -v18
	v_fma_f32 v22, v49, v26, -v27
	v_add_f32_e32 v25, v54, v55
	v_sub_f32_e32 v26, v12, v15
	v_add_f32_e32 v38, v46, v12
	v_sub_f32_e32 v41, v54, v55
	v_sub_f32_e32 v42, v12, v13
	v_sub_f32_e32 v43, v15, v16
	v_add_f32_e32 v44, v12, v15
	v_sub_f32_e32 v12, v13, v12
	v_sub_f32_e32 v45, v16, v15
	v_add_f32_e32 v48, v9, v19
	v_add_f32_e32 v49, v17, v23
	;; [unrolled: 1-line block ×5, first 2 shown]
	v_sub_f32_e32 v33, v17, v19
	v_add_f32_e32 v36, v36, v37
	v_sub_f32_e32 v37, v23, v28
	v_add_f32_e32 v34, v53, v14
	v_add_f32_e32 v39, v13, v16
	v_sub_f32_e32 v57, v19, v17
	v_sub_f32_e32 v58, v28, v23
	;; [unrolled: 1-line block ×5, first 2 shown]
	v_add_f32_e32 v13, v38, v13
	v_add_f32_e32 v38, v47, v20
	;; [unrolled: 1-line block ×5, first 2 shown]
	v_sub_f32_e32 v45, v17, v23
	v_add_f32_e32 v17, v48, v17
	v_sub_f32_e32 v48, v20, v18
	v_fma_f32 v49, -0.5, v49, v9
	v_fmac_f32_e32 v9, -0.5, v54
	v_add_f32_e32 v54, v20, v22
	v_sub_f32_e32 v20, v18, v20
	v_add_f32_e32 v33, v33, v37
	v_sub_f32_e32 v37, v21, v22
	v_fma_f32 v25, -0.5, v25, v8
	v_fma_f32 v8, -0.5, v34, v8
	v_fma_f32 v39, -0.5, v39, v46
	v_fma_f32 v44, -0.5, v44, v46
	v_sub_f32_e32 v56, v18, v21
	v_add_f32_e32 v57, v57, v58
	v_sub_f32_e32 v58, v22, v21
	v_sub_f32_e32 v19, v19, v28
	v_add_f32_e32 v18, v38, v18
	v_fma_f32 v38, -0.5, v43, v47
	v_add_f32_e32 v20, v20, v37
	v_fmamk_f32 v37, v26, 0xbf737871, v25
	v_fmac_f32_e32 v47, -0.5, v54
	v_fmamk_f32 v43, v27, 0x3f737871, v8
	v_fmac_f32_e32 v8, 0xbf737871, v27
	v_fmac_f32_e32 v25, 0x3f737871, v26
	v_add_f32_e32 v13, v13, v16
	v_fmamk_f32 v16, v40, 0x3f737871, v39
	v_fmamk_f32 v46, v41, 0xbf737871, v44
	v_fmac_f32_e32 v44, 0x3f737871, v41
	v_add_f32_e32 v17, v17, v23
	v_fmamk_f32 v23, v53, 0xbf737871, v49
	v_add_f32_e32 v34, v48, v58
	v_fmac_f32_e32 v39, 0xbf737871, v40
	v_fmamk_f32 v48, v56, 0x3f737871, v9
	v_fmac_f32_e32 v9, 0xbf737871, v56
	v_add_f32_e32 v24, v24, v55
	v_fmac_f32_e32 v49, 0x3f737871, v53
	v_fmamk_f32 v55, v19, 0x3f737871, v38
	v_fmac_f32_e32 v37, 0xbf167918, v27
	v_fmamk_f32 v58, v45, 0xbf737871, v47
	v_fmac_f32_e32 v47, 0x3f737871, v45
	v_fmac_f32_e32 v43, 0xbf167918, v26
	;; [unrolled: 1-line block ×12, first 2 shown]
	v_add_f32_e32 v18, v18, v21
	v_add_f32_e32 v14, v24, v14
	v_fmac_f32_e32 v49, 0x3f167918, v56
	v_fmac_f32_e32 v55, 0x3f167918, v45
	;; [unrolled: 1-line block ×7, first 2 shown]
	v_add_f32_e32 v15, v13, v15
	v_fmac_f32_e32 v38, 0xbf167918, v45
	v_fmac_f32_e32 v25, 0x3e9e377a, v29
	;; [unrolled: 1-line block ×3, first 2 shown]
	v_add_f32_e32 v13, v17, v28
	v_fmac_f32_e32 v46, 0x3e9e377a, v12
	v_fmac_f32_e32 v44, 0x3e9e377a, v12
	;; [unrolled: 1-line block ×6, first 2 shown]
	v_add_f32_e32 v17, v18, v22
	v_fmac_f32_e32 v49, 0x3e9e377a, v57
	v_fmac_f32_e32 v55, 0x3e9e377a, v34
	ds_write2_b32 v51, v14, v37 offset1:2
	ds_write2_b32 v51, v43, v8 offset0:4 offset1:6
	ds_write_b32 v51, v25 offset:32
	ds_write2_b32 v35, v13, v23 offset1:2
	ds_write2_b32 v35, v48, v9 offset0:4 offset1:6
	ds_write_b32 v35, v49 offset:32
	v_lshlrev_b32_sdwa v14, v50, v64 dst_sel:DWORD dst_unused:UNUSED_PAD src0_sel:DWORD src1_sel:WORD_0
	v_fmac_f32_e32 v58, 0x3e9e377a, v20
	v_fmac_f32_e32 v47, 0x3e9e377a, v20
	v_fmac_f32_e32 v38, 0x3e9e377a, v34
	s_waitcnt lgkmcnt(0)
	s_barrier
	buffer_gl0_inv
	ds_read2_b32 v[8:9], v0 offset1:175
	ds_read2_b32 v[12:13], v11 offset0:30 offset1:205
	ds_read2_b32 v[20:21], v6 offset0:60 offset1:235
	;; [unrolled: 1-line block ×4, first 2 shown]
	s_waitcnt lgkmcnt(0)
	s_barrier
	buffer_gl0_inv
	ds_write2_b32 v51, v15, v16 offset1:2
	ds_write2_b32 v51, v46, v44 offset0:4 offset1:6
	ds_write_b32 v51, v39 offset:32
	ds_write2_b32 v35, v17, v55 offset1:2
	ds_write2_b32 v35, v58, v47 offset0:4 offset1:6
	ds_write_b32 v35, v38 offset:32
	s_waitcnt lgkmcnt(0)
	s_barrier
	buffer_gl0_inv
	s_clause 0x3
	global_load_dwordx4 v[16:19], v52, s[12:13] offset:64
	global_load_dwordx4 v[25:28], v52, s[12:13] offset:80
	;; [unrolled: 1-line block ×4, first 2 shown]
	ds_read2_b32 v[55:56], v11 offset0:30 offset1:205
	ds_read2_b32 v[57:58], v6 offset0:60 offset1:235
	;; [unrolled: 1-line block ×4, first 2 shown]
	v_mov_b32_e32 v14, 0xc8
	v_mov_b32_e32 v6, 2
	v_add_nc_u32_e32 v23, 0x7c0, v0
	v_add_nc_u32_e32 v24, 0xfa0, v0
	v_mul_u32_u24_sdwa v7, v61, v14 dst_sel:DWORD dst_unused:UNUSED_PAD src0_sel:WORD_0 src1_sel:DWORD
	v_lshlrev_b32_sdwa v15, v6, v63 dst_sel:DWORD dst_unused:UNUSED_PAD src0_sel:DWORD src1_sel:BYTE_0
	v_mul_u32_u24_e32 v14, 0xc8, v62
	v_lshlrev_b32_sdwa v6, v6, v64 dst_sel:DWORD dst_unused:UNUSED_PAD src0_sel:DWORD src1_sel:WORD_0
	v_add3_u32 v15, 0, v7, v15
	v_add3_u32 v14, 0, v14, v6
	ds_read2_b32 v[6:7], v0 offset1:175
	s_waitcnt vmcnt(0) lgkmcnt(0)
	s_barrier
	buffer_gl0_inv
	v_mul_f32_e32 v43, v59, v26
	v_mul_f32_e32 v41, v55, v17
	;; [unrolled: 1-line block ×11, first 2 shown]
	v_fmac_f32_e32 v41, v12, v16
	v_fmac_f32_e32 v42, v20, v18
	v_mul_f32_e32 v12, v54, v52
	v_fmac_f32_e32 v43, v33, v25
	v_mul_f32_e32 v19, v20, v19
	;; [unrolled: 2-line block ×3, first 2 shown]
	v_fmac_f32_e32 v26, v21, v47
	v_fmac_f32_e32 v28, v34, v49
	v_mul_f32_e32 v48, v21, v48
	v_mul_f32_e32 v50, v34, v50
	v_fmac_f32_e32 v36, v13, v45
	v_fmac_f32_e32 v37, v54, v51
	v_fma_f32 v22, v55, v16, -v17
	v_fma_f32 v39, v59, v25, -v29
	;; [unrolled: 1-line block ×4, first 2 shown]
	v_add_f32_e32 v11, v42, v43
	v_fma_f32 v38, v57, v18, -v19
	v_sub_f32_e32 v16, v41, v42
	v_sub_f32_e32 v17, v44, v43
	v_add_f32_e32 v18, v41, v44
	v_fma_f32 v27, v56, v45, -v46
	v_add_f32_e32 v10, v8, v41
	v_add_f32_e32 v33, v26, v28
	v_fma_f32 v29, v58, v47, -v48
	v_fma_f32 v35, v60, v49, -v50
	v_add_f32_e32 v21, v9, v36
	v_add_f32_e32 v48, v36, v37
	v_sub_f32_e32 v12, v22, v40
	v_fma_f32 v11, -0.5, v11, v8
	v_sub_f32_e32 v13, v38, v39
	v_sub_f32_e32 v19, v42, v41
	;; [unrolled: 1-line block ×5, first 2 shown]
	v_add_f32_e32 v16, v16, v17
	v_fma_f32 v17, -0.5, v18, v8
	v_sub_f32_e32 v34, v27, v25
	v_add_f32_e32 v51, v10, v42
	v_fma_f32 v10, -0.5, v33, v9
	v_sub_f32_e32 v45, v29, v35
	v_add_f32_e32 v8, v21, v26
	v_fmac_f32_e32 v9, -0.5, v48
	v_fmamk_f32 v33, v12, 0xbf737871, v11
	v_add_f32_e32 v18, v19, v20
	v_add_f32_e32 v19, v46, v47
	v_fmamk_f32 v46, v13, 0x3f737871, v17
	v_fmac_f32_e32 v17, 0xbf737871, v13
	v_fmac_f32_e32 v11, 0x3f737871, v12
	v_fmamk_f32 v48, v34, 0xbf737871, v10
	v_sub_f32_e32 v49, v26, v36
	v_sub_f32_e32 v50, v28, v37
	v_add_f32_e32 v47, v8, v28
	v_fmamk_f32 v8, v45, 0x3f737871, v9
	v_fmac_f32_e32 v9, 0xbf737871, v45
	v_add_f32_e32 v21, v51, v43
	v_fmac_f32_e32 v10, 0x3f737871, v34
	v_fmac_f32_e32 v33, 0xbf167918, v13
	;; [unrolled: 1-line block ×6, first 2 shown]
	v_add_f32_e32 v20, v49, v50
	v_fmac_f32_e32 v8, 0xbf167918, v34
	v_fmac_f32_e32 v9, 0x3f167918, v34
	v_add_f32_e32 v21, v21, v44
	v_fmac_f32_e32 v10, 0x3f167918, v45
	v_fmac_f32_e32 v33, 0x3e9e377a, v16
	v_fmac_f32_e32 v46, 0x3e9e377a, v18
	v_fmac_f32_e32 v17, 0x3e9e377a, v18
	v_fmac_f32_e32 v11, 0x3e9e377a, v16
	v_add_f32_e32 v12, v47, v37
	v_fmac_f32_e32 v48, 0x3e9e377a, v19
	v_fmac_f32_e32 v8, 0x3e9e377a, v20
	;; [unrolled: 1-line block ×4, first 2 shown]
	ds_write2_b32 v15, v21, v33 offset1:10
	ds_write2_b32 v15, v46, v17 offset0:20 offset1:30
	ds_write_b32 v15, v11 offset:160
	ds_write2_b32 v14, v12, v48 offset1:10
	ds_write2_b32 v14, v8, v9 offset0:20 offset1:30
	ds_write_b32 v14, v10 offset:160
	s_waitcnt lgkmcnt(0)
	s_barrier
	buffer_gl0_inv
	ds_read2_b32 v[12:13], v0 offset1:250
	ds_read2_b32 v[20:21], v23 offset0:4 offset1:254
	ds_read2_b32 v[18:19], v24 offset1:250
	ds_read_b32 v34, v0 offset:6000
                                        ; implicit-def: $vgpr16
                                        ; implicit-def: $vgpr33
	s_and_saveexec_b32 s1, s0
	s_cbranch_execz .LBB0_15
; %bb.14:
	v_add_nc_u32_e32 v8, 0x2b0, v0
	v_add_nc_u32_e32 v10, 0xa80, v0
	;; [unrolled: 1-line block ×3, first 2 shown]
	ds_read2_b32 v[8:9], v8 offset0:3 offset1:253
	ds_read2_b32 v[10:11], v10 offset0:3 offset1:253
	;; [unrolled: 1-line block ×3, first 2 shown]
	ds_read_b32 v33, v0 offset:6700
.LBB0_15:
	s_or_b32 exec_lo, exec_lo, s1
	v_add_f32_e32 v45, v38, v39
	v_add_f32_e32 v46, v6, v22
	v_sub_f32_e32 v41, v41, v44
	v_sub_f32_e32 v42, v42, v43
	;; [unrolled: 1-line block ×3, first 2 shown]
	v_fma_f32 v43, -0.5, v45, v6
	v_sub_f32_e32 v45, v40, v39
	v_add_f32_e32 v47, v22, v40
	v_add_f32_e32 v46, v46, v38
	v_sub_f32_e32 v36, v36, v37
	v_sub_f32_e32 v26, v26, v28
	v_add_f32_e32 v44, v44, v45
	v_fma_f32 v45, -0.5, v47, v6
	v_add_f32_e32 v6, v46, v39
	v_add_f32_e32 v46, v29, v35
	v_fmamk_f32 v48, v41, 0x3f737871, v43
	v_fmac_f32_e32 v43, 0xbf737871, v41
	v_fmamk_f32 v47, v42, 0xbf737871, v45
	v_add_f32_e32 v49, v6, v40
	v_sub_f32_e32 v6, v38, v22
	v_sub_f32_e32 v38, v39, v40
	v_add_f32_e32 v39, v7, v27
	v_fmac_f32_e32 v45, 0x3f737871, v42
	v_fma_f32 v22, -0.5, v46, v7
	v_fmac_f32_e32 v47, 0x3f167918, v41
	v_add_f32_e32 v6, v6, v38
	v_add_f32_e32 v37, v39, v29
	;; [unrolled: 1-line block ×3, first 2 shown]
	v_fmac_f32_e32 v45, 0xbf167918, v41
	v_fmamk_f32 v38, v36, 0x3f737871, v22
	v_fmac_f32_e32 v47, 0x3e9e377a, v6
	v_add_f32_e32 v28, v37, v35
	v_fmac_f32_e32 v7, -0.5, v39
	v_sub_f32_e32 v37, v27, v29
	v_sub_f32_e32 v39, v25, v35
	v_fmac_f32_e32 v45, 0x3e9e377a, v6
	v_fmac_f32_e32 v22, 0xbf737871, v36
	v_fmamk_f32 v6, v26, 0xbf737871, v7
	v_sub_f32_e32 v27, v29, v27
	v_sub_f32_e32 v29, v35, v25
	v_fmac_f32_e32 v7, 0x3f737871, v26
	v_fmac_f32_e32 v48, 0x3f167918, v42
	;; [unrolled: 1-line block ×4, first 2 shown]
	v_add_f32_e32 v35, v37, v39
	v_fmac_f32_e32 v22, 0xbf167918, v26
	v_fmac_f32_e32 v6, 0x3f167918, v36
	v_add_f32_e32 v26, v27, v29
	v_fmac_f32_e32 v7, 0xbf167918, v36
	v_fmac_f32_e32 v48, 0x3e9e377a, v44
	;; [unrolled: 1-line block ×3, first 2 shown]
	v_add_f32_e32 v25, v28, v25
	v_fmac_f32_e32 v38, 0x3e9e377a, v35
	v_fmac_f32_e32 v6, 0x3e9e377a, v26
	;; [unrolled: 1-line block ×4, first 2 shown]
	s_waitcnt lgkmcnt(0)
	s_barrier
	buffer_gl0_inv
	ds_write2_b32 v15, v49, v48 offset1:10
	ds_write2_b32 v15, v47, v45 offset0:20 offset1:30
	ds_write_b32 v15, v43 offset:160
	ds_write2_b32 v14, v25, v38 offset1:10
	ds_write2_b32 v14, v6, v7 offset0:20 offset1:30
	ds_write_b32 v14, v22 offset:160
	s_waitcnt lgkmcnt(0)
	s_barrier
	buffer_gl0_inv
	ds_read2_b32 v[14:15], v0 offset1:250
	ds_read2_b32 v[28:29], v23 offset0:4 offset1:254
	ds_read2_b32 v[26:27], v24 offset1:250
	ds_read_b32 v38, v0 offset:6000
                                        ; implicit-def: $vgpr24
                                        ; implicit-def: $vgpr37
	s_and_saveexec_b32 s1, s0
	s_cbranch_execz .LBB0_17
; %bb.16:
	v_add_nc_u32_e32 v6, 0x2b0, v0
	v_add_nc_u32_e32 v22, 0xa80, v0
	;; [unrolled: 1-line block ×3, first 2 shown]
	ds_read2_b32 v[6:7], v6 offset0:3 offset1:253
	ds_read2_b32 v[22:23], v22 offset0:3 offset1:253
	;; [unrolled: 1-line block ×3, first 2 shown]
	ds_read_b32 v37, v0 offset:6700
.LBB0_17:
	s_or_b32 exec_lo, exec_lo, s1
	v_mul_lo_u16 v32, v32, 41
	v_mov_b32_e32 v35, 6
	v_mov_b32_e32 v43, 0x147b
	;; [unrolled: 1-line block ×3, first 2 shown]
	v_lshrrev_b16 v65, 11, v32
	v_mul_lo_u16 v32, v65, 50
	v_sub_nc_u16 v66, v30, v32
	v_mul_u32_u24_sdwa v32, v66, v35 dst_sel:DWORD dst_unused:UNUSED_PAD src0_sel:BYTE_0 src1_sel:DWORD
	v_lshlrev_b32_e32 v36, 3, v32
	v_lshrrev_b16 v32, 1, v31
	s_clause 0x1
	global_load_dwordx4 v[39:42], v36, s[12:13] offset:384
	global_load_dwordx4 v[45:48], v36, s[12:13] offset:400
	v_mul_u32_u24_sdwa v32, v32, v43 dst_sel:DWORD dst_unused:UNUSED_PAD src0_sel:WORD_0 src1_sel:DWORD
	global_load_dwordx4 v[49:52], v36, s[12:13] offset:416
	v_lshrrev_b32_e32 v32, 17, v32
	v_mul_lo_u16 v32, v32, 50
	v_sub_nc_u16 v32, v31, v32
	v_mul_u32_u24_sdwa v35, v32, v35 dst_sel:DWORD dst_unused:UNUSED_PAD src0_sel:WORD_0 src1_sel:DWORD
	v_lshlrev_b32_e32 v43, 3, v35
	s_clause 0x2
	global_load_dwordx4 v[53:56], v43, s[12:13] offset:384
	global_load_dwordx4 v[57:60], v43, s[12:13] offset:400
	global_load_dwordx4 v[61:64], v43, s[12:13] offset:416
	v_mov_b32_e32 v43, 0x578
	s_waitcnt vmcnt(0) lgkmcnt(0)
	s_barrier
	buffer_gl0_inv
	v_mul_f32_e32 v36, v15, v40
	v_mul_f32_e32 v40, v13, v40
	;; [unrolled: 1-line block ×4, first 2 shown]
	v_fmac_f32_e32 v36, v13, v39
	v_fma_f32 v13, v15, v39, -v40
	v_mul_f32_e32 v39, v29, v46
	v_fma_f32 v15, v28, v41, -v42
	v_mul_u32_u24_sdwa v28, v65, v43 dst_sel:DWORD dst_unused:UNUSED_PAD src0_sel:WORD_0 src1_sel:DWORD
	v_lshlrev_b32_sdwa v40, v44, v66 dst_sel:DWORD dst_unused:UNUSED_PAD src0_sel:DWORD src1_sel:BYTE_0
	v_fmac_f32_e32 v35, v20, v41
	v_fmac_f32_e32 v39, v21, v45
	v_mul_f32_e32 v41, v21, v46
	v_mul_f32_e32 v42, v27, v50
	v_add3_u32 v21, 0, v28, v40
	v_mul_f32_e32 v40, v26, v48
	v_mul_f32_e32 v28, v18, v48
	v_mul_f32_e32 v46, v38, v52
	v_fma_f32 v41, v29, v45, -v41
	v_fmac_f32_e32 v42, v19, v49
	v_fmac_f32_e32 v40, v18, v47
	v_mul_f32_e32 v18, v19, v50
	v_fma_f32 v45, v26, v47, -v28
	v_fmac_f32_e32 v46, v34, v51
	v_mul_f32_e32 v26, v34, v52
	v_and_b32_e32 v20, 0xff, v31
	v_fma_f32 v47, v27, v49, -v18
	v_fma_f32 v38, v38, v51, -v26
	v_mul_f32_e32 v19, v7, v54
	v_mul_f32_e32 v18, v22, v56
	;; [unrolled: 1-line block ×7, first 2 shown]
	v_fmac_f32_e32 v19, v9, v53
	v_fmac_f32_e32 v18, v10, v55
	v_add_f32_e32 v9, v36, v46
	v_add_f32_e32 v10, v35, v42
	v_mul_f32_e32 v26, v23, v58
	v_mul_f32_e32 v50, v16, v60
	;; [unrolled: 1-line block ×3, first 2 shown]
	v_fma_f32 v22, v22, v55, -v48
	v_fma_f32 v23, v23, v57, -v49
	v_fmac_f32_e32 v27, v16, v59
	v_fmac_f32_e32 v28, v17, v61
	v_add_f32_e32 v16, v39, v40
	v_sub_f32_e32 v17, v15, v47
	v_sub_f32_e32 v48, v45, v41
	v_add_f32_e32 v49, v10, v9
	v_fmac_f32_e32 v26, v11, v57
	v_sub_f32_e32 v11, v13, v38
	v_fma_f32 v34, v7, v53, -v34
	v_fma_f32 v24, v24, v59, -v50
	v_sub_f32_e32 v50, v10, v9
	v_sub_f32_e32 v9, v9, v16
	;; [unrolled: 1-line block ×3, first 2 shown]
	v_add_f32_e32 v52, v48, v17
	v_sub_f32_e32 v53, v48, v17
	v_add_f32_e32 v16, v16, v49
	v_sub_f32_e32 v17, v17, v11
	v_sub_f32_e32 v48, v11, v48
	v_add_f32_e32 v11, v52, v11
	v_mul_f32_e32 v9, 0x3f4a47b2, v9
	v_mul_f32_e32 v52, 0x3f08b237, v53
	v_add_f32_e32 v12, v12, v16
	v_mul_f32_e32 v49, 0x3d64c772, v10
	v_mul_f32_e32 v53, 0xbf5ff5aa, v17
	v_fmamk_f32 v10, v10, 0x3d64c772, v9
	v_fmamk_f32 v54, v48, 0xbeae86e6, v52
	v_fmamk_f32 v16, v16, 0xbf955555, v12
	v_fma_f32 v49, 0x3f3bfb3b, v50, -v49
	v_fma_f32 v52, 0xbf5ff5aa, v17, -v52
	;; [unrolled: 1-line block ×4, first 2 shown]
	v_mul_f32_e32 v29, v37, v64
	v_mul_f32_e32 v7, v33, v64
	v_fmac_f32_e32 v54, 0xbee1c552, v11
	v_add_f32_e32 v10, v10, v16
	v_fmac_f32_e32 v52, 0xbee1c552, v11
	v_fmac_f32_e32 v48, 0xbee1c552, v11
	v_add_f32_e32 v9, v9, v16
	v_add_f32_e32 v11, v49, v16
	v_fma_f32 v17, v25, v61, -v51
	v_fmac_f32_e32 v29, v33, v63
	v_add_f32_e32 v16, v54, v10
	v_fma_f32 v25, v37, v63, -v7
	v_add_f32_e32 v33, v48, v9
	v_sub_f32_e32 v49, v11, v52
	v_add_f32_e32 v11, v52, v11
	v_sub_f32_e32 v9, v9, v48
	v_sub_f32_e32 v10, v10, v54
	ds_write2_b32 v21, v12, v16 offset1:50
	ds_write2_b32 v21, v33, v49 offset0:100 offset1:150
	ds_write2_b32 v21, v11, v9 offset0:200 offset1:250
	ds_write_b32 v21, v10 offset:1200
	s_and_saveexec_b32 s1, s0
	s_cbranch_execz .LBB0_19
; %bb.18:
	v_add_f32_e32 v7, v19, v29
	v_add_f32_e32 v9, v18, v28
	;; [unrolled: 1-line block ×3, first 2 shown]
	v_sub_f32_e32 v11, v24, v23
	v_sub_f32_e32 v12, v22, v17
	;; [unrolled: 1-line block ×3, first 2 shown]
	v_add_f32_e32 v16, v9, v7
	v_sub_f32_e32 v37, v7, v10
	v_sub_f32_e32 v48, v10, v9
	;; [unrolled: 1-line block ×4, first 2 shown]
	v_add_f32_e32 v10, v10, v16
	v_sub_f32_e32 v16, v33, v11
	v_add_f32_e32 v11, v11, v12
	v_mul_f32_e32 v37, 0x3f4a47b2, v37
	v_sub_f32_e32 v12, v12, v33
	v_mul_f32_e32 v49, 0x3f08b237, v49
	v_add_f32_e32 v8, v8, v10
	v_mul_f32_e32 v9, 0x3d64c772, v48
	v_mul_lo_u16 v51, v20, 41
	v_add_f32_e32 v11, v11, v33
	v_fmamk_f32 v33, v48, 0x3d64c772, v37
	v_mul_f32_e32 v48, 0xbf5ff5aa, v12
	v_fmamk_f32 v50, v16, 0xbeae86e6, v49
	v_fmamk_f32 v10, v10, 0xbf955555, v8
	v_fma_f32 v37, 0xbf3bfb3b, v7, -v37
	v_fma_f32 v7, 0x3f3bfb3b, v7, -v9
	v_lshrrev_b16 v9, 11, v51
	v_fma_f32 v16, 0x3eae86e6, v16, -v48
	v_fma_f32 v12, 0xbf5ff5aa, v12, -v49
	v_fmac_f32_e32 v50, 0xbee1c552, v11
	v_add_f32_e32 v33, v33, v10
	v_add_f32_e32 v37, v37, v10
	;; [unrolled: 1-line block ×3, first 2 shown]
	v_mul_u32_u24_sdwa v9, v9, v43 dst_sel:DWORD dst_unused:UNUSED_PAD src0_sel:WORD_0 src1_sel:DWORD
	v_lshlrev_b32_sdwa v10, v44, v32 dst_sel:DWORD dst_unused:UNUSED_PAD src0_sel:DWORD src1_sel:WORD_0
	v_fmac_f32_e32 v16, 0xbee1c552, v11
	v_fmac_f32_e32 v12, 0xbee1c552, v11
	v_add_f32_e32 v44, v50, v33
	v_add3_u32 v9, 0, v9, v10
	v_add_f32_e32 v10, v16, v37
	v_sub_f32_e32 v43, v7, v12
	v_sub_f32_e32 v11, v37, v16
	v_add_f32_e32 v7, v12, v7
	v_sub_f32_e32 v12, v33, v50
	ds_write2_b32 v9, v8, v44 offset1:50
	ds_write2_b32 v9, v10, v43 offset0:100 offset1:150
	ds_write2_b32 v9, v7, v11 offset0:200 offset1:250
	ds_write_b32 v9, v12 offset:1200
.LBB0_19:
	s_or_b32 exec_lo, exec_lo, s1
	v_add_f32_e32 v7, v13, v38
	v_add_f32_e32 v8, v15, v47
	;; [unrolled: 1-line block ×3, first 2 shown]
	v_sub_f32_e32 v11, v35, v42
	v_sub_f32_e32 v12, v40, v39
	;; [unrolled: 1-line block ×3, first 2 shown]
	v_add_f32_e32 v13, v8, v7
	v_sub_f32_e32 v15, v8, v7
	v_sub_f32_e32 v7, v7, v10
	v_sub_f32_e32 v8, v10, v8
	v_add_f32_e32 v16, v12, v11
	v_add_f32_e32 v10, v10, v13
	v_sub_f32_e32 v13, v12, v11
	v_sub_f32_e32 v12, v9, v12
	;; [unrolled: 1-line block ×3, first 2 shown]
	v_add_f32_e32 v33, v16, v9
	v_add_f32_e32 v35, v14, v10
	v_mul_f32_e32 v9, 0x3d64c772, v8
	v_mul_f32_e32 v7, 0x3f4a47b2, v7
	v_mul_f32_e32 v13, 0x3f08b237, v13
	v_mul_f32_e32 v14, 0xbf5ff5aa, v11
	v_fmamk_f32 v36, v10, 0xbf955555, v35
	v_fma_f32 v9, 0x3f3bfb3b, v15, -v9
	v_fmamk_f32 v8, v8, 0x3d64c772, v7
	v_add_nc_u32_e32 v10, 0xa00, v0
	v_fma_f32 v39, 0xbf5ff5aa, v11, -v13
	v_add_nc_u32_e32 v11, 0x1000, v0
	v_add_f32_e32 v42, v9, v36
	v_add_nc_u32_e32 v9, 0x500, v0
	v_fmamk_f32 v38, v12, 0xbeae86e6, v13
	v_fma_f32 v40, 0x3eae86e6, v12, -v14
	v_add_nc_u32_e32 v12, 0x1500, v0
	v_fma_f32 v37, 0xbf3bfb3b, v15, -v7
	v_add_f32_e32 v41, v8, v36
	s_waitcnt lgkmcnt(0)
	s_barrier
	buffer_gl0_inv
	ds_read2_b32 v[7:8], v0 offset1:175
	ds_read2_b32 v[15:16], v9 offset0:30 offset1:205
	ds_read2_b32 v[13:14], v10 offset0:60 offset1:235
	;; [unrolled: 1-line block ×4, first 2 shown]
	v_fmac_f32_e32 v38, 0xbee1c552, v33
	v_add_f32_e32 v36, v37, v36
	v_fmac_f32_e32 v40, 0xbee1c552, v33
	v_fmac_f32_e32 v39, 0xbee1c552, v33
	s_waitcnt lgkmcnt(0)
	v_sub_f32_e32 v33, v41, v38
	v_add_f32_e32 v38, v38, v41
	v_sub_f32_e32 v37, v36, v40
	v_add_f32_e32 v43, v39, v42
	;; [unrolled: 2-line block ×3, first 2 shown]
	s_barrier
	buffer_gl0_inv
	ds_write2_b32 v21, v35, v33 offset1:50
	ds_write2_b32 v21, v37, v43 offset0:100 offset1:150
	ds_write2_b32 v21, v39, v36 offset0:200 offset1:250
	ds_write_b32 v21, v38 offset:1200
	s_and_saveexec_b32 s1, s0
	s_cbranch_execz .LBB0_21
; %bb.20:
	v_add_f32_e32 v21, v34, v25
	v_add_f32_e32 v17, v22, v17
	;; [unrolled: 1-line block ×3, first 2 shown]
	v_sub_f32_e32 v18, v18, v28
	v_sub_f32_e32 v23, v27, v26
	;; [unrolled: 1-line block ×3, first 2 shown]
	v_add_f32_e32 v24, v17, v21
	v_sub_f32_e32 v25, v17, v21
	v_sub_f32_e32 v21, v21, v22
	;; [unrolled: 1-line block ×3, first 2 shown]
	v_add_f32_e32 v26, v23, v18
	v_add_f32_e32 v22, v22, v24
	v_sub_f32_e32 v24, v23, v18
	v_sub_f32_e32 v23, v19, v23
	;; [unrolled: 1-line block ×3, first 2 shown]
	v_add_f32_e32 v19, v26, v19
	v_add_f32_e32 v6, v6, v22
	v_mul_f32_e32 v21, 0x3f4a47b2, v21
	v_mul_f32_e32 v26, 0x3d64c772, v17
	;; [unrolled: 1-line block ×4, first 2 shown]
	v_fmamk_f32 v22, v22, 0xbf955555, v6
	v_fmamk_f32 v17, v17, 0x3d64c772, v21
	v_fma_f32 v26, 0x3f3bfb3b, v25, -v26
	v_fma_f32 v21, 0xbf3bfb3b, v25, -v21
	v_mul_lo_u16 v20, v20, 41
	v_fmamk_f32 v25, v23, 0xbeae86e6, v24
	v_fma_f32 v18, 0xbf5ff5aa, v18, -v24
	v_fma_f32 v23, 0x3eae86e6, v23, -v27
	v_add_f32_e32 v17, v17, v22
	v_add_f32_e32 v24, v26, v22
	;; [unrolled: 1-line block ×3, first 2 shown]
	v_lshrrev_b16 v20, 11, v20
	v_mov_b32_e32 v22, 0x578
	v_mov_b32_e32 v26, 2
	v_fmac_f32_e32 v25, 0xbee1c552, v19
	v_fmac_f32_e32 v18, 0xbee1c552, v19
	;; [unrolled: 1-line block ×3, first 2 shown]
	v_mul_u32_u24_sdwa v19, v20, v22 dst_sel:DWORD dst_unused:UNUSED_PAD src0_sel:WORD_0 src1_sel:DWORD
	v_lshlrev_b32_sdwa v20, v26, v32 dst_sel:DWORD dst_unused:UNUSED_PAD src0_sel:DWORD src1_sel:WORD_0
	v_sub_f32_e32 v22, v17, v25
	v_add_f32_e32 v27, v18, v24
	v_sub_f32_e32 v26, v21, v23
	v_sub_f32_e32 v18, v24, v18
	v_add3_u32 v19, 0, v19, v20
	v_add_f32_e32 v20, v23, v21
	v_add_f32_e32 v17, v25, v17
	ds_write2_b32 v19, v6, v22 offset1:50
	ds_write2_b32 v19, v26, v27 offset0:100 offset1:150
	ds_write2_b32 v19, v18, v20 offset0:200 offset1:250
	ds_write_b32 v19, v17 offset:1200
.LBB0_21:
	s_or_b32 exec_lo, exec_lo, s1
	s_waitcnt lgkmcnt(0)
	s_barrier
	buffer_gl0_inv
	s_and_saveexec_b32 s0, vcc_lo
	s_cbranch_execz .LBB0_23
; %bb.22:
	v_lshlrev_b32_e32 v35, 2, v31
	v_mov_b32_e32 v36, 0
	v_mul_hi_u32 v42, 0x5d9f7391, v30
	v_add_nc_u32_e32 v45, 0xaf, v30
	v_add_nc_u32_e32 v37, 0x500, v0
	v_add_nc_u32_e32 v39, 0xa00, v0
	v_lshlrev_b64 v[17:18], 3, v[35:36]
	v_mul_lo_u32 v35, s2, v4
	v_mul_hi_u32 v46, 0x5d9f7391, v45
	v_add_nc_u32_e32 v41, 0x1500, v0
	v_lshrrev_b32_e32 v47, 7, v42
	v_add_nc_u32_e32 v43, 0x1000, v0
	v_add_co_u32 v6, vcc_lo, s12, v17
	v_add_co_ci_u32_e32 v19, vcc_lo, s13, v18, vcc_lo
	v_mov_b32_e32 v48, v36
	v_add_co_u32 v17, vcc_lo, 0x800, v6
	v_add_co_ci_u32_e32 v18, vcc_lo, 0, v19, vcc_lo
	v_add_co_u32 v21, vcc_lo, 0xae0, v6
	v_mov_b32_e32 v6, v36
	v_add_co_ci_u32_e32 v22, vcc_lo, 0, v19, vcc_lo
	s_clause 0x1
	global_load_dwordx4 v[17:20], v[17:18], off offset:736
	global_load_dwordx4 v[21:24], v[21:22], off offset:16
	v_lshlrev_b64 v[5:6], 3, v[5:6]
	ds_read2_b32 v[37:38], v37 offset0:30 offset1:205
	ds_read2_b32 v[39:40], v39 offset0:60 offset1:235
	;; [unrolled: 1-line block ×4, first 2 shown]
	v_add_co_u32 v29, vcc_lo, s12, v5
	v_add_co_ci_u32_e32 v31, vcc_lo, s13, v6, vcc_lo
	v_add_co_u32 v5, vcc_lo, 0x800, v29
	v_add_co_ci_u32_e32 v6, vcc_lo, 0, v31, vcc_lo
	global_load_dwordx4 v[25:28], v[5:6], off offset:736
	v_add_co_u32 v5, vcc_lo, 0xae0, v29
	v_add_co_ci_u32_e32 v6, vcc_lo, 0, v31, vcc_lo
	v_mul_lo_u32 v29, s3, v3
	v_mad_u64_u32 v[3:4], null, s2, v3, 0
	global_load_dwordx4 v[31:34], v[5:6], off offset:16
	ds_read2_b32 v[5:6], v0 offset1:175
	v_lshlrev_b64 v[0:1], 3, v[1:2]
	v_mov_b32_e32 v2, v36
	v_add3_u32 v4, v4, v35, v29
	v_mul_u32_u24_e32 v29, 0x15e, v47
	v_lshrrev_b32_e32 v35, 7, v46
	v_mov_b32_e32 v46, v36
	v_lshlrev_b64 v[3:4], 3, v[3:4]
	v_sub_nc_u32_e32 v29, v30, v29
	v_mul_u32_u24_e32 v30, 0x15e, v35
	v_add_co_u32 v3, vcc_lo, s10, v3
	v_add_co_ci_u32_e32 v4, vcc_lo, s11, v4, vcc_lo
	v_lshlrev_b32_e32 v29, 3, v29
	v_add_co_u32 v53, vcc_lo, v3, v0
	v_add_co_ci_u32_e32 v54, vcc_lo, v4, v1, vcc_lo
	v_sub_nc_u32_e32 v30, v45, v30
	v_add_co_u32 v3, vcc_lo, v53, v29
	v_add_co_ci_u32_e32 v4, vcc_lo, 0, v54, vcc_lo
	v_mad_u32_u24 v35, 0x6d6, v35, v30
	v_add_co_u32 v49, vcc_lo, 0x800, v3
	v_add_co_ci_u32_e32 v50, vcc_lo, 0, v4, vcc_lo
	v_add_co_u32 v51, vcc_lo, 0x1000, v3
	v_add_nc_u32_e32 v1, 0x15e, v35
	v_add_co_ci_u32_e32 v52, vcc_lo, 0, v4, vcc_lo
	v_lshlrev_b64 v[29:30], 3, v[35:36]
	v_add_nc_u32_e32 v45, 0x2bc, v35
	v_add_nc_u32_e32 v47, 0x41a, v35
	;; [unrolled: 1-line block ×3, first 2 shown]
	v_lshlrev_b64 v[35:36], 3, v[35:36]
	s_waitcnt vmcnt(3) lgkmcnt(4)
	v_mul_f32_e32 v57, v38, v18
	v_mul_f32_e32 v55, v14, v20
	;; [unrolled: 1-line block ×3, first 2 shown]
	s_waitcnt vmcnt(2)
	v_mul_f32_e32 v18, v10, v22
	s_waitcnt lgkmcnt(3)
	v_mul_f32_e32 v58, v40, v20
	v_fmac_f32_e32 v57, v16, v17
	v_add_co_u32 v16, vcc_lo, 0x2000, v3
	v_mul_f32_e32 v56, v12, v24
	v_fma_f32 v40, v40, v19, -v55
	s_waitcnt lgkmcnt(2)
	v_mul_f32_e32 v55, v42, v24
	s_waitcnt lgkmcnt(1)
	v_mul_f32_e32 v24, v44, v22
	v_fma_f32 v38, v38, v17, -v0
	v_add_co_ci_u32_e32 v17, vcc_lo, 0, v4, vcc_lo
	v_fma_f32 v44, v44, v21, -v18
	v_add_co_u32 v18, vcc_lo, 0x2800, v3
	v_lshlrev_b64 v[0:1], 3, v[1:2]
	v_fmac_f32_e32 v58, v14, v19
	v_add_co_ci_u32_e32 v19, vcc_lo, 0, v4, vcc_lo
	v_fmac_f32_e32 v24, v10, v21
	v_lshlrev_b64 v[20:21], 3, v[45:46]
	v_add_co_u32 v29, vcc_lo, v53, v29
	v_add_co_ci_u32_e32 v30, vcc_lo, v54, v30, vcc_lo
	v_fma_f32 v42, v42, v23, -v56
	v_fmac_f32_e32 v55, v12, v23
	v_lshlrev_b64 v[22:23], 3, v[47:48]
	v_add_co_u32 v0, vcc_lo, v53, v0
	s_waitcnt vmcnt(1)
	v_mul_f32_e32 v2, v15, v26
	v_mul_f32_e32 v10, v13, v28
	v_add_co_ci_u32_e32 v1, vcc_lo, v54, v1, vcc_lo
	v_add_co_u32 v20, vcc_lo, v53, v20
	v_add_co_ci_u32_e32 v21, vcc_lo, v54, v21, vcc_lo
	v_add_co_u32 v22, vcc_lo, v53, v22
	s_waitcnt vmcnt(0)
	v_mul_f32_e32 v12, v11, v34
	v_mul_f32_e32 v14, v9, v32
	v_fma_f32 v2, v37, v25, -v2
	v_mul_f32_e32 v26, v37, v26
	v_mul_f32_e32 v37, v41, v34
	v_fma_f32 v34, v39, v27, -v10
	v_mul_f32_e32 v28, v39, v28
	v_mul_f32_e32 v39, v43, v32
	v_add_co_ci_u32_e32 v23, vcc_lo, v54, v23, vcc_lo
	v_add_co_u32 v35, vcc_lo, v53, v35
	v_add_co_ci_u32_e32 v36, vcc_lo, v54, v36, vcc_lo
	v_fmac_f32_e32 v26, v15, v25
	v_sub_f32_e32 v10, v38, v40
	v_sub_f32_e32 v15, v42, v44
	v_fmac_f32_e32 v28, v13, v27
	v_add_f32_e32 v13, v40, v44
	v_sub_f32_e32 v25, v57, v58
	v_sub_f32_e32 v45, v55, v24
	v_add_f32_e32 v46, v58, v24
	v_fma_f32 v41, v41, v33, -v12
	v_sub_f32_e32 v47, v38, v42
	v_fma_f32 v43, v43, v31, -v14
	v_sub_f32_e32 v12, v40, v38
	v_sub_f32_e32 v14, v44, v42
	v_fmac_f32_e32 v37, v11, v33
	v_add_f32_e32 v11, v38, v42
	v_fmac_f32_e32 v39, v9, v31
	v_add_f32_e32 v53, v57, v55
	s_waitcnt lgkmcnt(0)
	v_add_f32_e32 v38, v38, v6
	v_add_f32_e32 v54, v8, v57
	v_sub_f32_e32 v27, v57, v55
	v_sub_f32_e32 v33, v58, v57
	v_sub_f32_e32 v31, v24, v55
	v_add_f32_e32 v15, v10, v15
	v_fma_f32 v10, -0.5, v13, v6
	v_add_f32_e32 v45, v25, v45
	v_fma_f32 v9, -0.5, v46, v8
	;; [unrolled: 2-line block ×3, first 2 shown]
	v_fma_f32 v11, -0.5, v53, v8
	v_add_f32_e32 v8, v40, v38
	v_add_f32_e32 v25, v54, v58
	v_add_f32_e32 v6, v34, v43
	v_add_f32_e32 v13, v28, v39
	v_add_f32_e32 v54, v2, v41
	v_add_f32_e32 v57, v26, v37
	v_sub_f32_e32 v32, v58, v24
	v_add_f32_e32 v58, v2, v5
	v_add_f32_e32 v59, v7, v26
	v_sub_f32_e32 v48, v40, v44
	v_add_f32_e32 v56, v33, v31
	v_sub_f32_e32 v31, v2, v34
	v_sub_f32_e32 v33, v41, v43
	;; [unrolled: 1-line block ×3, first 2 shown]
	v_fma_f32 v14, -0.5, v6, v5
	v_fma_f32 v13, -0.5, v13, v7
	;; [unrolled: 1-line block ×4, first 2 shown]
	v_sub_f32_e32 v57, v2, v41
	v_add_f32_e32 v44, v44, v8
	v_fmamk_f32 v8, v27, 0xbf737871, v10
	v_fmac_f32_e32 v10, 0x3f737871, v27
	v_sub_f32_e32 v38, v28, v39
	v_sub_f32_e32 v60, v34, v43
	;; [unrolled: 1-line block ×5, first 2 shown]
	v_add_f32_e32 v62, v25, v24
	v_sub_f32_e32 v24, v39, v37
	v_fmamk_f32 v25, v32, 0x3f737871, v12
	v_fmac_f32_e32 v12, 0xbf737871, v32
	v_add_f32_e32 v58, v34, v58
	v_add_f32_e32 v28, v59, v28
	;; [unrolled: 1-line block ×3, first 2 shown]
	v_fmac_f32_e32 v8, 0xbf167918, v32
	v_fmac_f32_e32 v10, 0x3f167918, v32
	v_fmamk_f32 v32, v40, 0xbf737871, v14
	v_fmamk_f32 v31, v57, 0x3f737871, v13
	v_fmac_f32_e32 v14, 0x3f737871, v40
	v_fmac_f32_e32 v13, 0xbf737871, v57
	v_sub_f32_e32 v2, v34, v2
	v_sub_f32_e32 v61, v43, v41
	v_fmamk_f32 v34, v38, 0xbf737871, v6
	v_fmamk_f32 v33, v60, 0x3f737871, v5
	v_fmac_f32_e32 v6, 0x3f737871, v38
	v_fmac_f32_e32 v5, 0xbf737871, v60
	v_add_f32_e32 v53, v53, v54
	v_fmamk_f32 v7, v47, 0x3f737871, v9
	v_add_f32_e32 v54, v26, v24
	v_fmamk_f32 v24, v48, 0xbf737871, v11
	v_fmac_f32_e32 v11, 0x3f737871, v48
	v_fmac_f32_e32 v9, 0xbf737871, v47
	;; [unrolled: 1-line block ×4, first 2 shown]
	v_add_f32_e32 v27, v42, v44
	v_add_f32_e32 v42, v43, v58
	;; [unrolled: 1-line block ×3, first 2 shown]
	v_fmac_f32_e32 v14, 0x3f167918, v38
	v_fmac_f32_e32 v13, 0xbf167918, v60
	v_add_f32_e32 v2, v2, v61
	v_fmac_f32_e32 v34, 0x3f167918, v40
	v_fmac_f32_e32 v33, 0xbf167918, v57
	v_fmac_f32_e32 v6, 0xbf167918, v40
	v_fmac_f32_e32 v5, 0x3f167918, v57
	v_fmac_f32_e32 v32, 0xbf167918, v38
	v_fmac_f32_e32 v31, 0x3f167918, v60
	v_fmac_f32_e32 v7, 0x3f167918, v48
	v_fmac_f32_e32 v24, 0x3f167918, v47
	v_fmac_f32_e32 v11, 0xbf167918, v47
	v_fmac_f32_e32 v9, 0xbf167918, v48
	v_add_f32_e32 v38, v41, v42
	v_add_f32_e32 v37, v37, v28
	v_fmac_f32_e32 v14, 0x3e9e377a, v63
	v_fmac_f32_e32 v13, 0x3e9e377a, v53
	;; [unrolled: 1-line block ×8, first 2 shown]
	v_add_f32_e32 v26, v55, v62
	v_fmac_f32_e32 v8, 0x3e9e377a, v15
	v_fmac_f32_e32 v7, 0x3e9e377a, v45
	;; [unrolled: 1-line block ×8, first 2 shown]
	global_store_dwordx2 v[3:4], v[37:38], off
	global_store_dwordx2 v[49:50], v[13:14], off offset:752
	global_store_dwordx2 v[51:52], v[33:34], off offset:1504
	global_store_dwordx2 v[16:17], v[5:6], off offset:208
	global_store_dwordx2 v[18:19], v[31:32], off offset:960
	global_store_dwordx2 v[29:30], v[26:27], off
	global_store_dwordx2 v[0:1], v[9:10], off
	global_store_dwordx2 v[20:21], v[11:12], off
	global_store_dwordx2 v[22:23], v[24:25], off
	global_store_dwordx2 v[35:36], v[7:8], off
.LBB0_23:
	s_endpgm
	.section	.rodata,"a",@progbits
	.p2align	6, 0x0
	.amdhsa_kernel fft_rtc_back_len1750_factors_2_5_5_7_5_wgs_175_tpt_175_halfLds_sp_op_CI_CI_unitstride_sbrr_dirReg
		.amdhsa_group_segment_fixed_size 0
		.amdhsa_private_segment_fixed_size 0
		.amdhsa_kernarg_size 104
		.amdhsa_user_sgpr_count 6
		.amdhsa_user_sgpr_private_segment_buffer 1
		.amdhsa_user_sgpr_dispatch_ptr 0
		.amdhsa_user_sgpr_queue_ptr 0
		.amdhsa_user_sgpr_kernarg_segment_ptr 1
		.amdhsa_user_sgpr_dispatch_id 0
		.amdhsa_user_sgpr_flat_scratch_init 0
		.amdhsa_user_sgpr_private_segment_size 0
		.amdhsa_wavefront_size32 1
		.amdhsa_uses_dynamic_stack 0
		.amdhsa_system_sgpr_private_segment_wavefront_offset 0
		.amdhsa_system_sgpr_workgroup_id_x 1
		.amdhsa_system_sgpr_workgroup_id_y 0
		.amdhsa_system_sgpr_workgroup_id_z 0
		.amdhsa_system_sgpr_workgroup_info 0
		.amdhsa_system_vgpr_workitem_id 0
		.amdhsa_next_free_vgpr 67
		.amdhsa_next_free_sgpr 27
		.amdhsa_reserve_vcc 1
		.amdhsa_reserve_flat_scratch 0
		.amdhsa_float_round_mode_32 0
		.amdhsa_float_round_mode_16_64 0
		.amdhsa_float_denorm_mode_32 3
		.amdhsa_float_denorm_mode_16_64 3
		.amdhsa_dx10_clamp 1
		.amdhsa_ieee_mode 1
		.amdhsa_fp16_overflow 0
		.amdhsa_workgroup_processor_mode 1
		.amdhsa_memory_ordered 1
		.amdhsa_forward_progress 0
		.amdhsa_shared_vgpr_count 0
		.amdhsa_exception_fp_ieee_invalid_op 0
		.amdhsa_exception_fp_denorm_src 0
		.amdhsa_exception_fp_ieee_div_zero 0
		.amdhsa_exception_fp_ieee_overflow 0
		.amdhsa_exception_fp_ieee_underflow 0
		.amdhsa_exception_fp_ieee_inexact 0
		.amdhsa_exception_int_div_zero 0
	.end_amdhsa_kernel
	.text
.Lfunc_end0:
	.size	fft_rtc_back_len1750_factors_2_5_5_7_5_wgs_175_tpt_175_halfLds_sp_op_CI_CI_unitstride_sbrr_dirReg, .Lfunc_end0-fft_rtc_back_len1750_factors_2_5_5_7_5_wgs_175_tpt_175_halfLds_sp_op_CI_CI_unitstride_sbrr_dirReg
                                        ; -- End function
	.section	.AMDGPU.csdata,"",@progbits
; Kernel info:
; codeLenInByte = 7856
; NumSgprs: 29
; NumVgprs: 67
; ScratchSize: 0
; MemoryBound: 0
; FloatMode: 240
; IeeeMode: 1
; LDSByteSize: 0 bytes/workgroup (compile time only)
; SGPRBlocks: 3
; VGPRBlocks: 8
; NumSGPRsForWavesPerEU: 29
; NumVGPRsForWavesPerEU: 67
; Occupancy: 12
; WaveLimiterHint : 1
; COMPUTE_PGM_RSRC2:SCRATCH_EN: 0
; COMPUTE_PGM_RSRC2:USER_SGPR: 6
; COMPUTE_PGM_RSRC2:TRAP_HANDLER: 0
; COMPUTE_PGM_RSRC2:TGID_X_EN: 1
; COMPUTE_PGM_RSRC2:TGID_Y_EN: 0
; COMPUTE_PGM_RSRC2:TGID_Z_EN: 0
; COMPUTE_PGM_RSRC2:TIDIG_COMP_CNT: 0
	.text
	.p2alignl 6, 3214868480
	.fill 48, 4, 3214868480
	.type	__hip_cuid_860198ac91143f8b,@object ; @__hip_cuid_860198ac91143f8b
	.section	.bss,"aw",@nobits
	.globl	__hip_cuid_860198ac91143f8b
__hip_cuid_860198ac91143f8b:
	.byte	0                               ; 0x0
	.size	__hip_cuid_860198ac91143f8b, 1

	.ident	"AMD clang version 19.0.0git (https://github.com/RadeonOpenCompute/llvm-project roc-6.4.0 25133 c7fe45cf4b819c5991fe208aaa96edf142730f1d)"
	.section	".note.GNU-stack","",@progbits
	.addrsig
	.addrsig_sym __hip_cuid_860198ac91143f8b
	.amdgpu_metadata
---
amdhsa.kernels:
  - .args:
      - .actual_access:  read_only
        .address_space:  global
        .offset:         0
        .size:           8
        .value_kind:     global_buffer
      - .offset:         8
        .size:           8
        .value_kind:     by_value
      - .actual_access:  read_only
        .address_space:  global
        .offset:         16
        .size:           8
        .value_kind:     global_buffer
      - .actual_access:  read_only
        .address_space:  global
        .offset:         24
        .size:           8
        .value_kind:     global_buffer
      - .actual_access:  read_only
        .address_space:  global
        .offset:         32
        .size:           8
        .value_kind:     global_buffer
      - .offset:         40
        .size:           8
        .value_kind:     by_value
      - .actual_access:  read_only
        .address_space:  global
        .offset:         48
        .size:           8
        .value_kind:     global_buffer
      - .actual_access:  read_only
        .address_space:  global
        .offset:         56
        .size:           8
        .value_kind:     global_buffer
      - .offset:         64
        .size:           4
        .value_kind:     by_value
      - .actual_access:  read_only
        .address_space:  global
        .offset:         72
        .size:           8
        .value_kind:     global_buffer
      - .actual_access:  read_only
        .address_space:  global
        .offset:         80
        .size:           8
        .value_kind:     global_buffer
      - .actual_access:  read_only
        .address_space:  global
        .offset:         88
        .size:           8
        .value_kind:     global_buffer
      - .actual_access:  write_only
        .address_space:  global
        .offset:         96
        .size:           8
        .value_kind:     global_buffer
    .group_segment_fixed_size: 0
    .kernarg_segment_align: 8
    .kernarg_segment_size: 104
    .language:       OpenCL C
    .language_version:
      - 2
      - 0
    .max_flat_workgroup_size: 175
    .name:           fft_rtc_back_len1750_factors_2_5_5_7_5_wgs_175_tpt_175_halfLds_sp_op_CI_CI_unitstride_sbrr_dirReg
    .private_segment_fixed_size: 0
    .sgpr_count:     29
    .sgpr_spill_count: 0
    .symbol:         fft_rtc_back_len1750_factors_2_5_5_7_5_wgs_175_tpt_175_halfLds_sp_op_CI_CI_unitstride_sbrr_dirReg.kd
    .uniform_work_group_size: 1
    .uses_dynamic_stack: false
    .vgpr_count:     67
    .vgpr_spill_count: 0
    .wavefront_size: 32
    .workgroup_processor_mode: 1
amdhsa.target:   amdgcn-amd-amdhsa--gfx1030
amdhsa.version:
  - 1
  - 2
...

	.end_amdgpu_metadata
